;; amdgpu-corpus repo=ROCm/rocm-examples kind=compiled arch=gfx90a opt=O3
	.text
	.amdgcn_target "amdgcn-amd-amdhsa--gfx90a"
	.amdhsa_code_object_version 6
	.section	.text._Z14moving_averageILj256ELj97EEvPKjPjj,"axG",@progbits,_Z14moving_averageILj256ELj97EEvPKjPjj,comdat
	.protected	_Z14moving_averageILj256ELj97EEvPKjPjj ; -- Begin function _Z14moving_averageILj256ELj97EEvPKjPjj
	.globl	_Z14moving_averageILj256ELj97EEvPKjPjj
	.p2align	8
	.type	_Z14moving_averageILj256ELj97EEvPKjPjj,@function
_Z14moving_averageILj256ELj97EEvPKjPjj: ; @_Z14moving_averageILj256ELj97EEvPKjPjj
; %bb.0:
	s_load_dword s7, s[4:5], 0x24
	s_load_dwordx4 s[0:3], s[4:5], 0x0
	s_load_dword s10, s[4:5], 0x10
	v_lshlrev_b32_e32 v1, 2, v0
	s_waitcnt lgkmcnt(0)
	s_and_b32 s4, s7, 0xffff
	s_mul_i32 s11, s6, s4
	s_movk_i32 s4, 0x160
	v_cmp_gt_u32_e32 vcc, s4, v0
	s_and_saveexec_b64 s[4:5], vcc
	s_cbranch_execz .LBB0_5
; %bb.1:
	s_mov_b64 s[6:7], 0
	v_mov_b32_e32 v3, 0
	s_movk_i32 s12, 0x5f
	v_mov_b32_e32 v4, v1
	v_mov_b32_e32 v5, v0
	s_branch .LBB0_3
.LBB0_2:                                ;   in Loop: Header=BB0_3 Depth=1
	s_or_b64 exec, exec, s[8:9]
	v_add_u32_e32 v2, 0x100, v5
	v_cmp_lt_u32_e32 vcc, s12, v5
	v_add_u32_e32 v4, 0x400, v4
	s_or_b64 s[6:7], vcc, s[6:7]
	v_mov_b32_e32 v5, v2
	s_andn2_b64 exec, exec, s[6:7]
	s_cbranch_execz .LBB0_5
.LBB0_3:                                ; =>This Inner Loop Header: Depth=1
	v_add_u32_e32 v2, s11, v5
	v_cmp_gt_u32_e32 vcc, s10, v2
	s_and_saveexec_b64 s[8:9], vcc
	s_cbranch_execz .LBB0_2
; %bb.4:                                ;   in Loop: Header=BB0_3 Depth=1
	v_lshlrev_b64 v[6:7], 2, v[2:3]
	v_mov_b32_e32 v2, s1
	v_add_co_u32_e32 v6, vcc, s0, v6
	v_addc_co_u32_e32 v7, vcc, v2, v7, vcc
	global_load_dword v2, v[6:7], off
	s_waitcnt vmcnt(0)
	ds_write_b32 v4, v2
	s_branch .LBB0_2
.LBB0_5:
	s_or_b64 exec, exec, s[4:5]
	v_add_u32_e32 v0, s11, v0
	s_addk_i32 s10, 0xffa0
	v_cmp_gt_u32_e32 vcc, s10, v0
	s_waitcnt lgkmcnt(0)
	s_barrier
	s_and_saveexec_b64 s[0:1], vcc
	s_cbranch_execz .LBB0_7
; %bb.6:
	ds_read2_b32 v[2:3], v1 offset0:6 offset1:7
	ds_read2_b32 v[4:5], v1 offset0:4 offset1:5
	;; [unrolled: 1-line block ×3, first 2 shown]
	ds_read2_b32 v[8:9], v1 offset1:1
	ds_read2_b32 v[10:11], v1 offset0:14 offset1:15
	ds_read2_b32 v[12:13], v1 offset0:12 offset1:13
	;; [unrolled: 1-line block ×24, first 2 shown]
	s_waitcnt lgkmcnt(14)
	v_add_u32_e32 v7, v9, v7
	v_add3_u32 v58, v8, v6, v7
	v_add_u32_e32 v3, v5, v3
	v_add_u32_e32 v6, v17, v15
	v_add3_u32 v59, v4, v2, v3
	v_add3_u32 v60, v16, v14, v6
	v_add_u32_e32 v11, v13, v11
	v_add_u32_e32 v14, v25, v23
	ds_read2_b32 v[2:3], v1 offset0:62 offset1:63
	ds_read2_b32 v[4:5], v1 offset0:60 offset1:61
	;; [unrolled: 1-line block ×4, first 2 shown]
	v_add3_u32 v61, v12, v10, v11
	v_add3_u32 v62, v24, v22, v14
	;; [unrolled: 1-line block ×3, first 2 shown]
	v_add_u32_e32 v19, v21, v19
	s_waitcnt lgkmcnt(14)
	v_add_u32_e32 v22, v33, v31
	ds_read2_b32 v[10:11], v1 offset0:70 offset1:71
	ds_read2_b32 v[12:13], v1 offset0:68 offset1:69
	;; [unrolled: 1-line block ×4, first 2 shown]
	v_add3_u32 v59, v20, v18, v19
	v_add3_u32 v60, v32, v30, v22
	;; [unrolled: 1-line block ×3, first 2 shown]
	v_add_u32_e32 v27, v29, v27
	s_waitcnt lgkmcnt(14)
	v_add_u32_e32 v30, v41, v39
	v_add3_u32 v61, v28, v26, v27
	v_add3_u32 v62, v40, v38, v30
	;; [unrolled: 1-line block ×3, first 2 shown]
	v_add_u32_e32 v35, v37, v35
	s_waitcnt lgkmcnt(12)
	v_add_u32_e32 v38, v49, v47
	v_add_u32_e32 v43, v45, v43
	ds_read2_b32 v[18:19], v1 offset0:78 offset1:79
	ds_read2_b32 v[20:21], v1 offset0:76 offset1:77
	;; [unrolled: 1-line block ×4, first 2 shown]
	v_add3_u32 v59, v36, v34, v35
	v_add3_u32 v46, v48, v46, v38
	;; [unrolled: 1-line block ×4, first 2 shown]
	s_waitcnt lgkmcnt(12)
	v_add_u32_e32 v43, v57, v55
	v_add3_u32 v46, v47, v59, v46
	v_add3_u32 v43, v56, v54, v43
	ds_read2_b32 v[26:27], v1 offset0:86 offset1:87
	ds_read2_b32 v[28:29], v1 offset0:84 offset1:85
	;; [unrolled: 1-line block ×4, first 2 shown]
	v_add3_u32 v42, v46, v42, v43
	v_add_u32_e32 v43, v53, v51
	s_waitcnt lgkmcnt(12)
	v_add_u32_e32 v7, v9, v7
	v_add_u32_e32 v3, v5, v3
	v_add3_u32 v43, v52, v50, v43
	v_add3_u32 v6, v8, v6, v7
	;; [unrolled: 1-line block ×3, first 2 shown]
	s_waitcnt lgkmcnt(8)
	v_add_u32_e32 v3, v17, v15
	v_add3_u32 v6, v42, v43, v6
	v_add3_u32 v3, v16, v14, v3
	ds_read2_b32 v[34:35], v1 offset0:94 offset1:95
	ds_read2_b32 v[36:37], v1 offset0:92 offset1:93
	;; [unrolled: 1-line block ×4, first 2 shown]
	ds_read_b32 v1, v1 offset:384
	v_add3_u32 v2, v6, v2, v3
	v_add_u32_e32 v3, v13, v11
	s_waitcnt lgkmcnt(9)
	v_add_u32_e32 v4, v25, v23
	v_add3_u32 v3, v12, v10, v3
	v_add3_u32 v4, v24, v22, v4
	v_add3_u32 v2, v2, v3, v4
	v_add_u32_e32 v3, v21, v19
	s_waitcnt lgkmcnt(5)
	v_add_u32_e32 v4, v33, v31
	v_add3_u32 v3, v20, v18, v3
	v_add3_u32 v4, v32, v30, v4
	v_add3_u32 v2, v2, v3, v4
	v_add_u32_e32 v3, v29, v27
	s_waitcnt lgkmcnt(1)
	v_add_u32_e32 v4, v41, v39
	v_add3_u32 v3, v28, v26, v3
	v_add3_u32 v4, v40, v38, v4
	v_add3_u32 v2, v2, v3, v4
	v_add_u32_e32 v3, v37, v35
	v_add3_u32 v3, v36, v34, v3
	s_waitcnt lgkmcnt(0)
	v_add3_u32 v1, v2, v3, v1
	s_mov_b32 s0, 0x51d07eaf
	v_mul_hi_u32 v2, v1, s0
	v_sub_u32_e32 v1, v1, v2
	v_lshrrev_b32_e32 v1, 1, v1
	v_add_u32_e32 v1, v1, v2
	v_lshrrev_b32_e32 v2, 6, v1
	v_mov_b32_e32 v1, 0
	v_lshlrev_b64 v[0:1], 2, v[0:1]
	v_mov_b32_e32 v3, s3
	v_add_co_u32_e32 v0, vcc, s2, v0
	v_addc_co_u32_e32 v1, vcc, v3, v1, vcc
	global_store_dword v[0:1], v2, off
.LBB0_7:
	s_endpgm
	.section	.rodata,"a",@progbits
	.p2align	6, 0x0
	.amdhsa_kernel _Z14moving_averageILj256ELj97EEvPKjPjj
		.amdhsa_group_segment_fixed_size 1408
		.amdhsa_private_segment_fixed_size 0
		.amdhsa_kernarg_size 280
		.amdhsa_user_sgpr_count 6
		.amdhsa_user_sgpr_private_segment_buffer 1
		.amdhsa_user_sgpr_dispatch_ptr 0
		.amdhsa_user_sgpr_queue_ptr 0
		.amdhsa_user_sgpr_kernarg_segment_ptr 1
		.amdhsa_user_sgpr_dispatch_id 0
		.amdhsa_user_sgpr_flat_scratch_init 0
		.amdhsa_user_sgpr_kernarg_preload_length 0
		.amdhsa_user_sgpr_kernarg_preload_offset 0
		.amdhsa_user_sgpr_private_segment_size 0
		.amdhsa_uses_dynamic_stack 0
		.amdhsa_system_sgpr_private_segment_wavefront_offset 0
		.amdhsa_system_sgpr_workgroup_id_x 1
		.amdhsa_system_sgpr_workgroup_id_y 0
		.amdhsa_system_sgpr_workgroup_id_z 0
		.amdhsa_system_sgpr_workgroup_info 0
		.amdhsa_system_vgpr_workitem_id 0
		.amdhsa_next_free_vgpr 63
		.amdhsa_next_free_sgpr 13
		.amdhsa_accum_offset 64
		.amdhsa_reserve_vcc 1
		.amdhsa_reserve_flat_scratch 0
		.amdhsa_float_round_mode_32 0
		.amdhsa_float_round_mode_16_64 0
		.amdhsa_float_denorm_mode_32 3
		.amdhsa_float_denorm_mode_16_64 3
		.amdhsa_dx10_clamp 1
		.amdhsa_ieee_mode 1
		.amdhsa_fp16_overflow 0
		.amdhsa_tg_split 0
		.amdhsa_exception_fp_ieee_invalid_op 0
		.amdhsa_exception_fp_denorm_src 0
		.amdhsa_exception_fp_ieee_div_zero 0
		.amdhsa_exception_fp_ieee_overflow 0
		.amdhsa_exception_fp_ieee_underflow 0
		.amdhsa_exception_fp_ieee_inexact 0
		.amdhsa_exception_int_div_zero 0
	.end_amdhsa_kernel
	.section	.text._Z14moving_averageILj256ELj97EEvPKjPjj,"axG",@progbits,_Z14moving_averageILj256ELj97EEvPKjPjj,comdat
.Lfunc_end0:
	.size	_Z14moving_averageILj256ELj97EEvPKjPjj, .Lfunc_end0-_Z14moving_averageILj256ELj97EEvPKjPjj
                                        ; -- End function
	.section	.AMDGPU.csdata,"",@progbits
; Kernel info:
; codeLenInByte = 1104
; NumSgprs: 17
; NumVgprs: 63
; NumAgprs: 0
; TotalNumVgprs: 63
; ScratchSize: 0
; MemoryBound: 0
; FloatMode: 240
; IeeeMode: 1
; LDSByteSize: 1408 bytes/workgroup (compile time only)
; SGPRBlocks: 2
; VGPRBlocks: 7
; NumSGPRsForWavesPerEU: 17
; NumVGPRsForWavesPerEU: 63
; AccumOffset: 64
; Occupancy: 8
; WaveLimiterHint : 0
; COMPUTE_PGM_RSRC2:SCRATCH_EN: 0
; COMPUTE_PGM_RSRC2:USER_SGPR: 6
; COMPUTE_PGM_RSRC2:TRAP_HANDLER: 0
; COMPUTE_PGM_RSRC2:TGID_X_EN: 1
; COMPUTE_PGM_RSRC2:TGID_Y_EN: 0
; COMPUTE_PGM_RSRC2:TGID_Z_EN: 0
; COMPUTE_PGM_RSRC2:TIDIG_COMP_CNT: 0
; COMPUTE_PGM_RSRC3_GFX90A:ACCUM_OFFSET: 15
; COMPUTE_PGM_RSRC3_GFX90A:TG_SPLIT: 0
	.text
	.p2alignl 6, 3212836864
	.fill 256, 4, 3212836864
	.type	__hip_cuid_caf442f2cab32ece,@object ; @__hip_cuid_caf442f2cab32ece
	.section	.bss,"aw",@nobits
	.globl	__hip_cuid_caf442f2cab32ece
__hip_cuid_caf442f2cab32ece:
	.byte	0                               ; 0x0
	.size	__hip_cuid_caf442f2cab32ece, 1

	.ident	"AMD clang version 19.0.0git (https://github.com/RadeonOpenCompute/llvm-project roc-6.4.0 25133 c7fe45cf4b819c5991fe208aaa96edf142730f1d)"
	.section	".note.GNU-stack","",@progbits
	.addrsig
	.addrsig_sym __hip_cuid_caf442f2cab32ece
	.amdgpu_metadata
---
amdhsa.kernels:
  - .agpr_count:     0
    .args:
      - .address_space:  global
        .offset:         0
        .size:           8
        .value_kind:     global_buffer
      - .address_space:  global
        .offset:         8
        .size:           8
        .value_kind:     global_buffer
      - .offset:         16
        .size:           4
        .value_kind:     by_value
      - .offset:         24
        .size:           4
        .value_kind:     hidden_block_count_x
      - .offset:         28
        .size:           4
        .value_kind:     hidden_block_count_y
      - .offset:         32
        .size:           4
        .value_kind:     hidden_block_count_z
      - .offset:         36
        .size:           2
        .value_kind:     hidden_group_size_x
      - .offset:         38
        .size:           2
        .value_kind:     hidden_group_size_y
      - .offset:         40
        .size:           2
        .value_kind:     hidden_group_size_z
      - .offset:         42
        .size:           2
        .value_kind:     hidden_remainder_x
      - .offset:         44
        .size:           2
        .value_kind:     hidden_remainder_y
      - .offset:         46
        .size:           2
        .value_kind:     hidden_remainder_z
      - .offset:         64
        .size:           8
        .value_kind:     hidden_global_offset_x
      - .offset:         72
        .size:           8
        .value_kind:     hidden_global_offset_y
      - .offset:         80
        .size:           8
        .value_kind:     hidden_global_offset_z
      - .offset:         88
        .size:           2
        .value_kind:     hidden_grid_dims
    .group_segment_fixed_size: 1408
    .kernarg_segment_align: 8
    .kernarg_segment_size: 280
    .language:       OpenCL C
    .language_version:
      - 2
      - 0
    .max_flat_workgroup_size: 1024
    .name:           _Z14moving_averageILj256ELj97EEvPKjPjj
    .private_segment_fixed_size: 0
    .sgpr_count:     17
    .sgpr_spill_count: 0
    .symbol:         _Z14moving_averageILj256ELj97EEvPKjPjj.kd
    .uniform_work_group_size: 1
    .uses_dynamic_stack: false
    .vgpr_count:     63
    .vgpr_spill_count: 0
    .wavefront_size: 64
amdhsa.target:   amdgcn-amd-amdhsa--gfx90a
amdhsa.version:
  - 1
  - 2
...

	.end_amdgpu_metadata
